;; amdgpu-corpus repo=ROCm/rocFFT kind=compiled arch=gfx1100 opt=O3
	.text
	.amdgcn_target "amdgcn-amd-amdhsa--gfx1100"
	.amdhsa_code_object_version 6
	.protected	fft_rtc_fwd_len784_factors_2_2_2_2_7_7_wgs_56_tpt_56_halfLds_sp_op_CI_CI_unitstride_sbrr_dirReg ; -- Begin function fft_rtc_fwd_len784_factors_2_2_2_2_7_7_wgs_56_tpt_56_halfLds_sp_op_CI_CI_unitstride_sbrr_dirReg
	.globl	fft_rtc_fwd_len784_factors_2_2_2_2_7_7_wgs_56_tpt_56_halfLds_sp_op_CI_CI_unitstride_sbrr_dirReg
	.p2align	8
	.type	fft_rtc_fwd_len784_factors_2_2_2_2_7_7_wgs_56_tpt_56_halfLds_sp_op_CI_CI_unitstride_sbrr_dirReg,@function
fft_rtc_fwd_len784_factors_2_2_2_2_7_7_wgs_56_tpt_56_halfLds_sp_op_CI_CI_unitstride_sbrr_dirReg: ; @fft_rtc_fwd_len784_factors_2_2_2_2_7_7_wgs_56_tpt_56_halfLds_sp_op_CI_CI_unitstride_sbrr_dirReg
; %bb.0:
	s_clause 0x2
	s_load_b128 s[8:11], s[0:1], 0x0
	s_load_b128 s[4:7], s[0:1], 0x58
	;; [unrolled: 1-line block ×3, first 2 shown]
	v_mul_u32_u24_e32 v1, 0x493, v0
	v_mov_b32_e32 v7, 0
	v_mov_b32_e32 v5, 0
	;; [unrolled: 1-line block ×3, first 2 shown]
	s_delay_alu instid0(VALU_DEP_4) | instskip(NEXT) | instid1(VALU_DEP_1)
	v_lshrrev_b32_e32 v1, 16, v1
	v_dual_mov_b32 v10, v7 :: v_dual_add_nc_u32 v9, s15, v1
	s_waitcnt lgkmcnt(0)
	v_cmp_lt_u64_e64 s2, s[10:11], 2
	s_delay_alu instid0(VALU_DEP_1)
	s_and_b32 vcc_lo, exec_lo, s2
	s_cbranch_vccnz .LBB0_8
; %bb.1:
	s_load_b64 s[2:3], s[0:1], 0x10
	v_mov_b32_e32 v5, 0
	v_mov_b32_e32 v6, 0
	s_add_u32 s12, s18, 8
	s_addc_u32 s13, s19, 0
	s_add_u32 s14, s16, 8
	s_delay_alu instid0(VALU_DEP_1)
	v_dual_mov_b32 v1, v5 :: v_dual_mov_b32 v2, v6
	s_addc_u32 s15, s17, 0
	s_mov_b64 s[22:23], 1
	s_waitcnt lgkmcnt(0)
	s_add_u32 s20, s2, 8
	s_addc_u32 s21, s3, 0
.LBB0_2:                                ; =>This Inner Loop Header: Depth=1
	s_load_b64 s[24:25], s[20:21], 0x0
                                        ; implicit-def: $vgpr3_vgpr4
	s_mov_b32 s2, exec_lo
	s_waitcnt lgkmcnt(0)
	v_or_b32_e32 v8, s25, v10
	s_delay_alu instid0(VALU_DEP_1)
	v_cmpx_ne_u64_e32 0, v[7:8]
	s_xor_b32 s3, exec_lo, s2
	s_cbranch_execz .LBB0_4
; %bb.3:                                ;   in Loop: Header=BB0_2 Depth=1
	v_cvt_f32_u32_e32 v3, s24
	v_cvt_f32_u32_e32 v4, s25
	s_sub_u32 s2, 0, s24
	s_subb_u32 s26, 0, s25
	s_delay_alu instid0(VALU_DEP_1) | instskip(NEXT) | instid1(VALU_DEP_1)
	v_fmac_f32_e32 v3, 0x4f800000, v4
	v_rcp_f32_e32 v3, v3
	s_waitcnt_depctr 0xfff
	v_mul_f32_e32 v3, 0x5f7ffffc, v3
	s_delay_alu instid0(VALU_DEP_1) | instskip(NEXT) | instid1(VALU_DEP_1)
	v_mul_f32_e32 v4, 0x2f800000, v3
	v_trunc_f32_e32 v4, v4
	s_delay_alu instid0(VALU_DEP_1) | instskip(SKIP_1) | instid1(VALU_DEP_2)
	v_fmac_f32_e32 v3, 0xcf800000, v4
	v_cvt_u32_f32_e32 v4, v4
	v_cvt_u32_f32_e32 v3, v3
	s_delay_alu instid0(VALU_DEP_2) | instskip(NEXT) | instid1(VALU_DEP_2)
	v_mul_lo_u32 v8, s2, v4
	v_mul_hi_u32 v11, s2, v3
	v_mul_lo_u32 v12, s26, v3
	s_delay_alu instid0(VALU_DEP_2) | instskip(SKIP_1) | instid1(VALU_DEP_2)
	v_add_nc_u32_e32 v8, v11, v8
	v_mul_lo_u32 v11, s2, v3
	v_add_nc_u32_e32 v8, v8, v12
	s_delay_alu instid0(VALU_DEP_2) | instskip(NEXT) | instid1(VALU_DEP_2)
	v_mul_hi_u32 v12, v3, v11
	v_mul_lo_u32 v13, v3, v8
	v_mul_hi_u32 v14, v3, v8
	v_mul_hi_u32 v15, v4, v11
	v_mul_lo_u32 v11, v4, v11
	v_mul_hi_u32 v16, v4, v8
	v_mul_lo_u32 v8, v4, v8
	v_add_co_u32 v12, vcc_lo, v12, v13
	v_add_co_ci_u32_e32 v13, vcc_lo, 0, v14, vcc_lo
	s_delay_alu instid0(VALU_DEP_2) | instskip(NEXT) | instid1(VALU_DEP_2)
	v_add_co_u32 v11, vcc_lo, v12, v11
	v_add_co_ci_u32_e32 v11, vcc_lo, v13, v15, vcc_lo
	v_add_co_ci_u32_e32 v12, vcc_lo, 0, v16, vcc_lo
	s_delay_alu instid0(VALU_DEP_2) | instskip(NEXT) | instid1(VALU_DEP_2)
	v_add_co_u32 v8, vcc_lo, v11, v8
	v_add_co_ci_u32_e32 v11, vcc_lo, 0, v12, vcc_lo
	s_delay_alu instid0(VALU_DEP_2) | instskip(NEXT) | instid1(VALU_DEP_2)
	v_add_co_u32 v3, vcc_lo, v3, v8
	v_add_co_ci_u32_e32 v4, vcc_lo, v4, v11, vcc_lo
	s_delay_alu instid0(VALU_DEP_2) | instskip(SKIP_1) | instid1(VALU_DEP_3)
	v_mul_hi_u32 v8, s2, v3
	v_mul_lo_u32 v12, s26, v3
	v_mul_lo_u32 v11, s2, v4
	s_delay_alu instid0(VALU_DEP_1) | instskip(SKIP_1) | instid1(VALU_DEP_2)
	v_add_nc_u32_e32 v8, v8, v11
	v_mul_lo_u32 v11, s2, v3
	v_add_nc_u32_e32 v8, v8, v12
	s_delay_alu instid0(VALU_DEP_2) | instskip(NEXT) | instid1(VALU_DEP_2)
	v_mul_hi_u32 v12, v3, v11
	v_mul_lo_u32 v13, v3, v8
	v_mul_hi_u32 v14, v3, v8
	v_mul_hi_u32 v15, v4, v11
	v_mul_lo_u32 v11, v4, v11
	v_mul_hi_u32 v16, v4, v8
	v_mul_lo_u32 v8, v4, v8
	v_add_co_u32 v12, vcc_lo, v12, v13
	v_add_co_ci_u32_e32 v13, vcc_lo, 0, v14, vcc_lo
	s_delay_alu instid0(VALU_DEP_2) | instskip(NEXT) | instid1(VALU_DEP_2)
	v_add_co_u32 v11, vcc_lo, v12, v11
	v_add_co_ci_u32_e32 v11, vcc_lo, v13, v15, vcc_lo
	v_add_co_ci_u32_e32 v12, vcc_lo, 0, v16, vcc_lo
	s_delay_alu instid0(VALU_DEP_2) | instskip(NEXT) | instid1(VALU_DEP_2)
	v_add_co_u32 v8, vcc_lo, v11, v8
	v_add_co_ci_u32_e32 v11, vcc_lo, 0, v12, vcc_lo
	s_delay_alu instid0(VALU_DEP_2) | instskip(NEXT) | instid1(VALU_DEP_2)
	v_add_co_u32 v8, vcc_lo, v3, v8
	v_add_co_ci_u32_e32 v15, vcc_lo, v4, v11, vcc_lo
	s_delay_alu instid0(VALU_DEP_2) | instskip(SKIP_1) | instid1(VALU_DEP_3)
	v_mul_hi_u32 v16, v9, v8
	v_mad_u64_u32 v[11:12], null, v10, v8, 0
	v_mad_u64_u32 v[3:4], null, v9, v15, 0
	;; [unrolled: 1-line block ×3, first 2 shown]
	s_delay_alu instid0(VALU_DEP_2) | instskip(NEXT) | instid1(VALU_DEP_3)
	v_add_co_u32 v3, vcc_lo, v16, v3
	v_add_co_ci_u32_e32 v4, vcc_lo, 0, v4, vcc_lo
	s_delay_alu instid0(VALU_DEP_2) | instskip(NEXT) | instid1(VALU_DEP_2)
	v_add_co_u32 v3, vcc_lo, v3, v11
	v_add_co_ci_u32_e32 v3, vcc_lo, v4, v12, vcc_lo
	v_add_co_ci_u32_e32 v4, vcc_lo, 0, v14, vcc_lo
	s_delay_alu instid0(VALU_DEP_2) | instskip(NEXT) | instid1(VALU_DEP_2)
	v_add_co_u32 v8, vcc_lo, v3, v13
	v_add_co_ci_u32_e32 v11, vcc_lo, 0, v4, vcc_lo
	s_delay_alu instid0(VALU_DEP_2) | instskip(SKIP_1) | instid1(VALU_DEP_3)
	v_mul_lo_u32 v12, s25, v8
	v_mad_u64_u32 v[3:4], null, s24, v8, 0
	v_mul_lo_u32 v13, s24, v11
	s_delay_alu instid0(VALU_DEP_2) | instskip(NEXT) | instid1(VALU_DEP_2)
	v_sub_co_u32 v3, vcc_lo, v9, v3
	v_add3_u32 v4, v4, v13, v12
	s_delay_alu instid0(VALU_DEP_1) | instskip(NEXT) | instid1(VALU_DEP_1)
	v_sub_nc_u32_e32 v12, v10, v4
	v_subrev_co_ci_u32_e64 v12, s2, s25, v12, vcc_lo
	v_add_co_u32 v13, s2, v8, 2
	s_delay_alu instid0(VALU_DEP_1) | instskip(SKIP_3) | instid1(VALU_DEP_3)
	v_add_co_ci_u32_e64 v14, s2, 0, v11, s2
	v_sub_co_u32 v15, s2, v3, s24
	v_sub_co_ci_u32_e32 v4, vcc_lo, v10, v4, vcc_lo
	v_subrev_co_ci_u32_e64 v12, s2, 0, v12, s2
	v_cmp_le_u32_e32 vcc_lo, s24, v15
	s_delay_alu instid0(VALU_DEP_3) | instskip(SKIP_1) | instid1(VALU_DEP_4)
	v_cmp_eq_u32_e64 s2, s25, v4
	v_cndmask_b32_e64 v15, 0, -1, vcc_lo
	v_cmp_le_u32_e32 vcc_lo, s25, v12
	v_cndmask_b32_e64 v16, 0, -1, vcc_lo
	v_cmp_le_u32_e32 vcc_lo, s24, v3
	;; [unrolled: 2-line block ×3, first 2 shown]
	v_cndmask_b32_e64 v17, 0, -1, vcc_lo
	v_cmp_eq_u32_e32 vcc_lo, s25, v12
	s_delay_alu instid0(VALU_DEP_2) | instskip(SKIP_3) | instid1(VALU_DEP_3)
	v_cndmask_b32_e64 v3, v17, v3, s2
	v_cndmask_b32_e32 v12, v16, v15, vcc_lo
	v_add_co_u32 v15, vcc_lo, v8, 1
	v_add_co_ci_u32_e32 v16, vcc_lo, 0, v11, vcc_lo
	v_cmp_ne_u32_e32 vcc_lo, 0, v12
	s_delay_alu instid0(VALU_DEP_2) | instskip(NEXT) | instid1(VALU_DEP_4)
	v_cndmask_b32_e32 v4, v16, v14, vcc_lo
	v_cndmask_b32_e32 v12, v15, v13, vcc_lo
	v_cmp_ne_u32_e32 vcc_lo, 0, v3
	s_delay_alu instid0(VALU_DEP_3) | instskip(NEXT) | instid1(VALU_DEP_3)
	v_cndmask_b32_e32 v4, v11, v4, vcc_lo
	v_cndmask_b32_e32 v3, v8, v12, vcc_lo
.LBB0_4:                                ;   in Loop: Header=BB0_2 Depth=1
	s_and_not1_saveexec_b32 s2, s3
	s_cbranch_execz .LBB0_6
; %bb.5:                                ;   in Loop: Header=BB0_2 Depth=1
	v_cvt_f32_u32_e32 v3, s24
	s_sub_i32 s3, 0, s24
	s_delay_alu instid0(VALU_DEP_1) | instskip(SKIP_2) | instid1(VALU_DEP_1)
	v_rcp_iflag_f32_e32 v3, v3
	s_waitcnt_depctr 0xfff
	v_mul_f32_e32 v3, 0x4f7ffffe, v3
	v_cvt_u32_f32_e32 v3, v3
	s_delay_alu instid0(VALU_DEP_1) | instskip(NEXT) | instid1(VALU_DEP_1)
	v_mul_lo_u32 v4, s3, v3
	v_mul_hi_u32 v4, v3, v4
	s_delay_alu instid0(VALU_DEP_1) | instskip(NEXT) | instid1(VALU_DEP_1)
	v_add_nc_u32_e32 v3, v3, v4
	v_mul_hi_u32 v3, v9, v3
	s_delay_alu instid0(VALU_DEP_1) | instskip(SKIP_1) | instid1(VALU_DEP_2)
	v_mul_lo_u32 v4, v3, s24
	v_add_nc_u32_e32 v8, 1, v3
	v_sub_nc_u32_e32 v4, v9, v4
	s_delay_alu instid0(VALU_DEP_1) | instskip(SKIP_1) | instid1(VALU_DEP_2)
	v_subrev_nc_u32_e32 v11, s24, v4
	v_cmp_le_u32_e32 vcc_lo, s24, v4
	v_dual_cndmask_b32 v4, v4, v11 :: v_dual_cndmask_b32 v3, v3, v8
	s_delay_alu instid0(VALU_DEP_1) | instskip(NEXT) | instid1(VALU_DEP_2)
	v_cmp_le_u32_e32 vcc_lo, s24, v4
	v_add_nc_u32_e32 v8, 1, v3
	v_mov_b32_e32 v4, v7
	s_delay_alu instid0(VALU_DEP_2)
	v_cndmask_b32_e32 v3, v3, v8, vcc_lo
.LBB0_6:                                ;   in Loop: Header=BB0_2 Depth=1
	s_or_b32 exec_lo, exec_lo, s2
	s_delay_alu instid0(VALU_DEP_2) | instskip(NEXT) | instid1(VALU_DEP_2)
	v_mul_lo_u32 v8, v4, s24
	v_mul_lo_u32 v13, v3, s25
	s_load_b64 s[2:3], s[14:15], 0x0
	v_mad_u64_u32 v[11:12], null, v3, s24, 0
	s_load_b64 s[24:25], s[12:13], 0x0
	s_add_u32 s22, s22, 1
	s_addc_u32 s23, s23, 0
	s_add_u32 s12, s12, 8
	s_addc_u32 s13, s13, 0
	s_add_u32 s14, s14, 8
	s_delay_alu instid0(VALU_DEP_1) | instskip(SKIP_3) | instid1(VALU_DEP_2)
	v_add3_u32 v8, v12, v13, v8
	v_sub_co_u32 v12, vcc_lo, v9, v11
	s_addc_u32 s15, s15, 0
	s_add_u32 s20, s20, 8
	v_sub_co_ci_u32_e32 v10, vcc_lo, v10, v8, vcc_lo
	s_addc_u32 s21, s21, 0
	s_waitcnt lgkmcnt(0)
	s_delay_alu instid0(VALU_DEP_1)
	v_mul_lo_u32 v13, s2, v10
	v_mul_lo_u32 v14, s3, v12
	v_mad_u64_u32 v[8:9], null, s2, v12, v[5:6]
	v_mul_lo_u32 v15, s24, v10
	v_mul_lo_u32 v16, s25, v12
	v_mad_u64_u32 v[10:11], null, s24, v12, v[1:2]
	v_cmp_ge_u64_e64 s2, s[22:23], s[10:11]
	v_add3_u32 v6, v14, v9, v13
	v_mov_b32_e32 v5, v8
	s_delay_alu instid0(VALU_DEP_4)
	v_add3_u32 v2, v16, v11, v15
	v_mov_b32_e32 v1, v10
	s_and_b32 vcc_lo, exec_lo, s2
	s_cbranch_vccnz .LBB0_9
; %bb.7:                                ;   in Loop: Header=BB0_2 Depth=1
	v_dual_mov_b32 v10, v4 :: v_dual_mov_b32 v9, v3
	s_branch .LBB0_2
.LBB0_8:
	v_dual_mov_b32 v1, v5 :: v_dual_mov_b32 v2, v6
	v_dual_mov_b32 v3, v9 :: v_dual_mov_b32 v4, v10
.LBB0_9:
	s_load_b64 s[0:1], s[0:1], 0x28
	v_mul_hi_u32 v21, 0x4924925, v0
	s_lshl_b64 s[10:11], s[10:11], 3
                                        ; implicit-def: $sgpr12_sgpr13
                                        ; implicit-def: $vgpr35
	s_delay_alu instid0(SALU_CYCLE_1) | instskip(SKIP_4) | instid1(VALU_DEP_1)
	s_add_u32 s2, s18, s10
	s_addc_u32 s3, s19, s11
	s_waitcnt lgkmcnt(0)
	v_cmp_gt_u64_e32 vcc_lo, s[0:1], v[3:4]
	v_cmp_le_u64_e64 s0, s[0:1], v[3:4]
	s_and_saveexec_b32 s1, s0
	s_delay_alu instid0(SALU_CYCLE_1)
	s_xor_b32 s0, exec_lo, s1
; %bb.10:
	v_mul_u32_u24_e32 v5, 56, v21
	s_mov_b64 s[12:13], 0
                                        ; implicit-def: $vgpr21
	s_delay_alu instid0(VALU_DEP_1)
	v_sub_nc_u32_e32 v35, v0, v5
                                        ; implicit-def: $vgpr0
                                        ; implicit-def: $vgpr5_vgpr6
; %bb.11:
	s_or_saveexec_b32 s1, s0
	v_dual_mov_b32 v7, s12 :: v_dual_mov_b32 v8, s13
	v_dual_mov_b32 v18, s13 :: v_dual_mov_b32 v17, s12
	;; [unrolled: 1-line block ×7, first 2 shown]
                                        ; implicit-def: $vgpr32
                                        ; implicit-def: $vgpr28
                                        ; implicit-def: $vgpr26
                                        ; implicit-def: $vgpr24
                                        ; implicit-def: $vgpr22
                                        ; implicit-def: $vgpr30
                                        ; implicit-def: $vgpr34
	s_xor_b32 exec_lo, exec_lo, s1
	s_cbranch_execz .LBB0_13
; %bb.12:
	s_add_u32 s10, s16, s10
	s_addc_u32 s11, s17, s11
	v_lshlrev_b64 v[5:6], 3, v[5:6]
	s_load_b64 s[10:11], s[10:11], 0x0
	s_waitcnt lgkmcnt(0)
	v_mul_lo_u32 v9, s11, v3
	v_mul_lo_u32 v10, s10, v4
	v_mad_u64_u32 v[7:8], null, s10, v3, 0
	s_delay_alu instid0(VALU_DEP_1) | instskip(SKIP_1) | instid1(VALU_DEP_2)
	v_add3_u32 v8, v8, v10, v9
	v_mul_u32_u24_e32 v9, 56, v21
	v_lshlrev_b64 v[7:8], 3, v[7:8]
	s_delay_alu instid0(VALU_DEP_2) | instskip(NEXT) | instid1(VALU_DEP_2)
	v_sub_nc_u32_e32 v35, v0, v9
	v_add_co_u32 v0, s0, s4, v7
	s_delay_alu instid0(VALU_DEP_1) | instskip(NEXT) | instid1(VALU_DEP_3)
	v_add_co_ci_u32_e64 v7, s0, s5, v8, s0
	v_lshlrev_b32_e32 v8, 3, v35
	s_delay_alu instid0(VALU_DEP_3) | instskip(NEXT) | instid1(VALU_DEP_1)
	v_add_co_u32 v0, s0, v0, v5
	v_add_co_ci_u32_e64 v6, s0, v7, v6, s0
	s_delay_alu instid0(VALU_DEP_2) | instskip(NEXT) | instid1(VALU_DEP_1)
	v_add_co_u32 v5, s0, v0, v8
	v_add_co_ci_u32_e64 v6, s0, 0, v6, s0
	s_clause 0x3
	global_load_b64 v[7:8], v[5:6], off
	global_load_b64 v[17:18], v[5:6], off offset:448
	global_load_b64 v[11:12], v[5:6], off offset:896
	;; [unrolled: 1-line block ×3, first 2 shown]
	v_add_co_u32 v21, s0, 0x1000, v5
	s_delay_alu instid0(VALU_DEP_1)
	v_add_co_ci_u32_e64 v22, s0, 0, v6, s0
	s_clause 0x9
	global_load_b64 v[19:20], v[5:6], off offset:1792
	global_load_b64 v[9:10], v[5:6], off offset:2240
	;; [unrolled: 1-line block ×10, first 2 shown]
.LBB0_13:
	s_or_b32 exec_lo, exec_lo, s1
	s_waitcnt vmcnt(4)
	v_dual_sub_f32 v32, v8, v32 :: v_dual_sub_f32 v39, v11, v29
	v_sub_f32_e32 v34, v18, v34
	v_dual_sub_f32 v6, v7, v31 :: v_dual_sub_f32 v37, v17, v33
	s_delay_alu instid0(VALU_DEP_3)
	v_fma_f32 v31, v8, 2.0, -v32
	s_waitcnt vmcnt(2)
	v_dual_sub_f32 v8, v12, v30 :: v_dual_sub_f32 v29, v19, v25
	v_fma_f32 v33, v18, 2.0, -v34
	s_waitcnt vmcnt(0)
	v_dual_sub_f32 v18, v15, v27 :: v_dual_sub_f32 v41, v14, v22
	v_sub_f32_e32 v27, v16, v28
	v_lshl_add_u32 v25, v35, 3, 0
	v_lshlrev_b32_e32 v0, 2, v35
	v_fma_f32 v5, v7, 2.0, -v6
	v_fma_f32 v7, v12, 2.0, -v8
	v_dual_sub_f32 v12, v20, v26 :: v_dual_add_nc_u32 v43, 0xa8, v35
	v_add_nc_u32_e32 v44, 0xe0, v35
	v_fma_f32 v26, v16, 2.0, -v27
	v_dual_sub_f32 v24, v10, v24 :: v_dual_add_nc_u32 v45, 0x118, v35
	v_add_nc_u32_e32 v22, 56, v35
	v_sub_nc_u32_e32 v0, v25, v0
	v_sub_f32_e32 v16, v9, v23
	v_fma_f32 v38, v11, 2.0, -v39
	v_fma_f32 v11, v20, 2.0, -v12
	s_delay_alu instid0(VALU_DEP_4)
	v_dual_sub_f32 v20, v13, v21 :: v_dual_add_nc_u32 v21, 0x200, v0
	v_add_nc_u32_e32 v42, 0x70, v35
	v_add_nc_u32_e32 v46, 0x150, v35
	v_fma_f32 v28, v19, 2.0, -v29
	v_lshl_add_u32 v49, v44, 3, 0
	v_fma_f32 v36, v17, 2.0, -v37
	v_fma_f32 v17, v15, 2.0, -v18
	;; [unrolled: 1-line block ×3, first 2 shown]
	v_lshl_add_u32 v30, v22, 3, 0
	v_lshl_add_u32 v50, v45, 3, 0
	v_fma_f32 v19, v13, 2.0, -v20
	v_lshl_add_u32 v47, v42, 3, 0
	v_lshl_add_u32 v51, v46, 3, 0
	v_lshl_add_u32 v48, v43, 3, 0
	s_load_b64 s[0:1], s[2:3], 0x0
	ds_store_b64 v25, v[5:6]
	ds_store_b64 v30, v[36:37]
	;; [unrolled: 1-line block ×7, first 2 shown]
	v_add_nc_u32_e32 v19, 0x400, v0
	v_and_b32_e32 v52, 1, v35
	v_fma_f32 v23, v10, 2.0, -v24
	v_fma_f32 v40, v14, 2.0, -v41
	v_add_nc_u32_e32 v20, 0x800, v0
	s_waitcnt lgkmcnt(0)
	s_barrier
	buffer_gl0_inv
	ds_load_2addr_b32 v[9:10], v0 offset1:56
	ds_load_2addr_b32 v[13:14], v19 offset0:80 offset1:136
	ds_load_2addr_b32 v[15:16], v19 offset0:192 offset1:248
	;; [unrolled: 1-line block ×6, first 2 shown]
	s_waitcnt lgkmcnt(0)
	s_barrier
	buffer_gl0_inv
	ds_store_b64 v25, v[31:32]
	ds_store_b64 v30, v[33:34]
	;; [unrolled: 1-line block ×7, first 2 shown]
	s_waitcnt lgkmcnt(0)
	s_barrier
	buffer_gl0_inv
	ds_load_2addr_b32 v[11:12], v19 offset0:80 offset1:136
	v_lshlrev_b32_e32 v5, 3, v52
	ds_load_2addr_b32 v[23:24], v19 offset0:192 offset1:248
	v_lshlrev_b32_e32 v49, 1, v43
	global_load_b64 v[6:7], v5, s[8:9]
	v_lshlrev_b32_e32 v5, 1, v35
	s_waitcnt vmcnt(0) lgkmcnt(0)
	v_dual_mul_f32 v60, v24, v7 :: v_dual_lshlrev_b32 v45, 1, v45
	v_mul_f32_e32 v59, v15, v7
	v_mul_f32_e32 v57, v14, v7
	;; [unrolled: 1-line block ×5, first 2 shown]
	v_fmac_f32_e32 v59, v23, v6
	v_lshlrev_b32_e32 v48, 1, v42
	ds_load_2addr_b32 v[25:26], v20 offset0:48 offset1:104
	ds_load_2addr_b32 v[30:31], v0 offset1:56
	ds_load_2addr_b32 v[32:33], v0 offset0:112 offset1:168
	ds_load_2addr_b32 v[40:41], v21 offset0:96 offset1:152
	;; [unrolled: 1-line block ×3, first 2 shown]
	v_fmac_f32_e32 v61, v24, v6
	v_mul_f32_e32 v67, v38, v7
	v_fmac_f32_e32 v57, v12, v6
	v_lshlrev_b32_e32 v47, 1, v22
	v_dual_mul_f32 v65, v29, v7 :: v_dual_lshlrev_b32 v44, 1, v44
	s_waitcnt lgkmcnt(0)
	s_barrier
	buffer_gl0_inv
	v_fmac_f32_e32 v63, v25, v6
	v_lshlrev_b32_e32 v46, 1, v46
	v_dual_fmac_f32 v65, v26, v6 :: v_dual_mul_f32 v62, v25, v7
	v_sub_f32_e32 v25, v30, v57
	v_fmac_f32_e32 v67, v42, v6
	v_and_or_b32 v8, 0x7c, v5, v52
	v_mul_f32_e32 v68, v43, v7
	v_mul_f32_e32 v64, v26, v7
	v_sub_f32_e32 v26, v31, v59
	v_and_or_b32 v51, 0x1fc, v48, v52
	v_lshl_add_u32 v50, v8, 2, 0
	v_and_or_b32 v8, 0xfc, v47, v52
	v_fma_f32 v24, v39, v6, -v68
	v_mul_f32_e32 v66, v42, v7
	v_and_or_b32 v54, 0x3fc, v44, v52
	v_and_or_b32 v55, 0x2fc, v45, v52
	v_lshl_add_u32 v56, v8, 2, 0
	v_mul_f32_e32 v8, v12, v7
	v_mul_f32_e32 v7, v39, v7
	v_fma_f32 v12, v15, v6, -v58
	v_fma_f32 v23, v38, v6, -v66
	v_sub_f32_e32 v38, v40, v65
	v_fma_f32 v8, v14, v6, -v8
	v_dual_fmac_f32 v7, v43, v6 :: v_dual_and_b32 v34, 3, v35
	v_fma_f32 v14, v16, v6, -v60
	v_fma_f32 v15, v28, v6, -v62
	;; [unrolled: 1-line block ×3, first 2 shown]
	s_delay_alu instid0(VALU_DEP_4)
	v_dual_sub_f32 v6, v9, v8 :: v_dual_lshlrev_b32 v27, 3, v34
	v_sub_f32_e32 v8, v10, v12
	v_sub_f32_e32 v12, v17, v14
	;; [unrolled: 1-line block ×3, first 2 shown]
	v_and_or_b32 v53, 0x1fc, v49, v52
	v_sub_f32_e32 v14, v18, v15
	v_sub_f32_e32 v29, v33, v63
	v_dual_sub_f32 v15, v36, v16 :: v_dual_sub_f32 v16, v37, v23
	v_sub_f32_e32 v23, v13, v24
	v_and_or_b32 v52, 0x3fc, v46, v52
	v_sub_f32_e32 v39, v41, v67
	v_sub_f32_e32 v42, v11, v7
	v_fma_f32 v7, v9, 2.0, -v6
	v_fma_f32 v30, v30, 2.0, -v25
	;; [unrolled: 1-line block ×4, first 2 shown]
	v_lshl_add_u32 v51, v51, 2, 0
	v_fma_f32 v10, v17, 2.0, -v12
	v_fma_f32 v32, v32, 2.0, -v28
	v_lshl_add_u32 v53, v53, 2, 0
	v_fma_f32 v17, v18, 2.0, -v14
	v_fma_f32 v18, v33, 2.0, -v29
	;; [unrolled: 3-line block ×3, first 2 shown]
	v_fma_f32 v13, v13, 2.0, -v23
	v_lshl_add_u32 v55, v55, 2, 0
	v_lshl_add_u32 v52, v52, 2, 0
	v_fma_f32 v36, v37, 2.0, -v16
	v_fma_f32 v37, v41, 2.0, -v39
	;; [unrolled: 1-line block ×3, first 2 shown]
	ds_store_2addr_b32 v50, v7, v6 offset1:2
	ds_store_2addr_b32 v56, v9, v8 offset1:2
	;; [unrolled: 1-line block ×7, first 2 shown]
	s_waitcnt lgkmcnt(0)
	s_barrier
	buffer_gl0_inv
	ds_load_2addr_b32 v[6:7], v0 offset1:56
	ds_load_2addr_b32 v[8:9], v19 offset0:80 offset1:136
	ds_load_2addr_b32 v[10:11], v19 offset0:192 offset1:248
	;; [unrolled: 1-line block ×6, first 2 shown]
	s_waitcnt lgkmcnt(0)
	s_barrier
	buffer_gl0_inv
	ds_store_2addr_b32 v50, v30, v25 offset1:2
	ds_store_2addr_b32 v56, v31, v26 offset1:2
	;; [unrolled: 1-line block ×7, first 2 shown]
	s_waitcnt lgkmcnt(0)
	s_barrier
	buffer_gl0_inv
	global_load_b64 v[25:26], v27, s[8:9] offset:16
	v_and_or_b32 v27, 0x78, v5, v34
	v_and_or_b32 v33, 0xf8, v47, v34
	ds_load_2addr_b32 v[29:30], v19 offset0:192 offset1:248
	ds_load_2addr_b32 v[31:32], v20 offset0:48 offset1:104
	v_and_or_b32 v36, 0x1f8, v48, v34
	v_lshl_add_u32 v43, v27, 2, 0
	ds_load_2addr_b32 v[27:28], v19 offset0:80 offset1:136
	v_and_or_b32 v37, 0x1f8, v49, v34
	v_and_or_b32 v38, 0x3f8, v44, v34
	;; [unrolled: 1-line block ×4, first 2 shown]
	v_lshl_add_u32 v50, v33, 2, 0
	ds_load_2addr_b32 v[33:34], v20 offset0:160 offset1:216
	v_lshl_add_u32 v51, v36, 2, 0
	v_lshl_add_u32 v52, v37, 2, 0
	;; [unrolled: 1-line block ×5, first 2 shown]
	ds_load_2addr_b32 v[36:37], v0 offset1:56
	ds_load_2addr_b32 v[38:39], v0 offset0:112 offset1:168
	ds_load_2addr_b32 v[40:41], v21 offset0:96 offset1:152
	v_and_b32_e32 v18, 7, v35
	s_waitcnt vmcnt(0) lgkmcnt(0)
	s_barrier
	buffer_gl0_inv
	v_mul_f32_e32 v65, v15, v26
	v_mul_f32_e32 v56, v28, v26
	;; [unrolled: 1-line block ×10, first 2 shown]
	v_dual_mul_f32 v66, v33, v26 :: v_dual_fmac_f32 v65, v32, v25
	v_mul_f32_e32 v67, v23, v26
	v_mul_f32_e32 v68, v34, v26
	v_fma_f32 v9, v9, v25, -v56
	v_mul_f32_e32 v26, v24, v26
	v_fmac_f32_e32 v57, v28, v25
	v_fma_f32 v10, v10, v25, -v58
	v_fmac_f32_e32 v59, v29, v25
	v_sub_f32_e32 v9, v6, v9
	v_fma_f32 v11, v11, v25, -v60
	v_fmac_f32_e32 v61, v30, v25
	v_fma_f32 v14, v14, v25, -v62
	v_fmac_f32_e32 v63, v31, v25
	v_fma_f32 v15, v15, v25, -v64
	v_fma_f32 v23, v23, v25, -v66
	v_fmac_f32_e32 v26, v34, v25
	v_fmac_f32_e32 v67, v33, v25
	v_fma_f32 v24, v24, v25, -v68
	v_dual_sub_f32 v25, v36, v57 :: v_dual_sub_f32 v10, v7, v10
	v_dual_sub_f32 v28, v37, v59 :: v_dual_sub_f32 v29, v38, v61
	;; [unrolled: 1-line block ×6, first 2 shown]
	v_lshlrev_b32_e32 v42, 3, v18
	v_sub_f32_e32 v32, v41, v67
	v_fma_f32 v6, v6, 2.0, -v9
	v_fma_f32 v33, v36, 2.0, -v25
	;; [unrolled: 1-line block ×14, first 2 shown]
	ds_store_2addr_b32 v43, v6, v9 offset1:4
	ds_store_2addr_b32 v50, v7, v10 offset1:4
	;; [unrolled: 1-line block ×7, first 2 shown]
	s_waitcnt lgkmcnt(0)
	s_barrier
	buffer_gl0_inv
	ds_load_2addr_b32 v[6:7], v0 offset1:56
	ds_load_2addr_b32 v[8:9], v19 offset0:80 offset1:136
	ds_load_2addr_b32 v[10:11], v19 offset0:192 offset1:248
	;; [unrolled: 1-line block ×6, first 2 shown]
	s_waitcnt lgkmcnt(0)
	s_barrier
	buffer_gl0_inv
	ds_store_2addr_b32 v43, v33, v25 offset1:4
	ds_store_2addr_b32 v50, v34, v28 offset1:4
	ds_store_2addr_b32 v51, v36, v29 offset1:4
	ds_store_2addr_b32 v52, v37, v30 offset1:4
	ds_store_2addr_b32 v53, v38, v31 offset1:4
	ds_store_2addr_b32 v54, v39, v32 offset1:4
	ds_store_2addr_b32 v55, v27, v26 offset1:4
	s_waitcnt lgkmcnt(0)
	s_barrier
	buffer_gl0_inv
	global_load_b64 v[25:26], v42, s[8:9] offset:48
	ds_load_2addr_b32 v[29:30], v19 offset0:192 offset1:248
	v_and_b32_e32 v56, 15, v35
	v_and_or_b32 v33, 0xf0, v47, v18
	v_and_or_b32 v34, 0x1f0, v48, v18
	ds_load_2addr_b32 v[27:28], v19 offset0:80 offset1:136
	v_and_or_b32 v36, 0x1f0, v49, v18
	v_and_or_b32 v5, 0x70, v5, v18
	v_lshl_add_u32 v49, v33, 2, 0
	v_lshl_add_u32 v50, v34, 2, 0
	ds_load_2addr_b32 v[33:34], v20 offset0:160 offset1:216
	v_and_or_b32 v37, 0x3f0, v44, v18
	v_and_or_b32 v38, 0x2f0, v45, v18
	;; [unrolled: 1-line block ×3, first 2 shown]
	v_lshl_add_u32 v51, v36, 2, 0
	v_lshl_add_u32 v5, v5, 2, 0
	;; [unrolled: 1-line block ×5, first 2 shown]
	s_waitcnt vmcnt(0) lgkmcnt(2)
	v_mul_f32_e32 v43, v29, v26
	v_mul_u32_u24_e32 v31, 6, v56
	v_mul_f32_e32 v61, v23, v26
	s_waitcnt lgkmcnt(1)
	v_mul_f32_e32 v18, v28, v26
	v_mul_f32_e32 v45, v30, v26
	v_dual_mul_f32 v59, v15, v26 :: v_dual_lshlrev_b32 v48, 3, v31
	ds_load_2addr_b32 v[31:32], v20 offset0:48 offset1:104
	ds_load_2addr_b32 v[36:37], v0 offset1:56
	ds_load_2addr_b32 v[38:39], v0 offset0:112 offset1:168
	ds_load_2addr_b32 v[40:41], v21 offset0:96 offset1:152
	v_mul_f32_e32 v42, v9, v26
	s_waitcnt lgkmcnt(4)
	v_fmac_f32_e32 v61, v33, v25
	v_fma_f32 v9, v9, v25, -v18
	v_mul_f32_e32 v46, v11, v26
	v_fma_f32 v11, v11, v25, -v45
	v_mul_f32_e32 v44, v10, v26
	v_fma_f32 v10, v10, v25, -v43
	v_sub_f32_e32 v9, v6, v9
	s_delay_alu instid0(VALU_DEP_4) | instskip(NEXT) | instid1(VALU_DEP_4)
	v_dual_fmac_f32 v46, v30, v25 :: v_dual_sub_f32 v11, v12, v11
	v_fmac_f32_e32 v44, v29, v25
	v_mul_f32_e32 v62, v34, v26
	s_delay_alu instid0(VALU_DEP_4)
	v_fma_f32 v6, v6, 2.0, -v9
	s_waitcnt lgkmcnt(0)
	v_fma_f32 v12, v12, 2.0, -v11
	s_barrier
	buffer_gl0_inv
	v_fmac_f32_e32 v59, v32, v25
	v_dual_mul_f32 v55, v14, v26 :: v_dual_fmac_f32 v42, v28, v25
	v_mul_f32_e32 v47, v31, v26
	v_mul_f32_e32 v57, v32, v26
	s_delay_alu instid0(VALU_DEP_3) | instskip(SKIP_1) | instid1(VALU_DEP_4)
	v_dual_fmac_f32 v55, v31, v25 :: v_dual_and_b32 v58, 15, v22
	v_mul_f32_e32 v60, v33, v26
	v_fma_f32 v14, v14, v25, -v47
	s_delay_alu instid0(VALU_DEP_4)
	v_fma_f32 v15, v15, v25, -v57
	v_sub_f32_e32 v10, v7, v10
	v_sub_f32_e32 v29, v39, v55
	v_fma_f32 v18, v23, v25, -v60
	v_fma_f32 v23, v24, v25, -v62
	v_dual_sub_f32 v15, v16, v15 :: v_dual_sub_f32 v14, v13, v14
	v_dual_mul_f32 v26, v24, v26 :: v_dual_sub_f32 v31, v41, v61
	s_delay_alu instid0(VALU_DEP_3)
	v_dual_sub_f32 v28, v38, v46 :: v_dual_sub_f32 v23, v8, v23
	v_sub_f32_e32 v18, v17, v18
	v_fma_f32 v7, v7, 2.0, -v10
	v_fma_f32 v13, v13, 2.0, -v14
	;; [unrolled: 1-line block ×3, first 2 shown]
	v_fmac_f32_e32 v26, v34, v25
	v_fma_f32 v17, v17, 2.0, -v18
	v_fma_f32 v8, v8, 2.0, -v23
	ds_store_2addr_b32 v5, v6, v9 offset1:8
	ds_store_2addr_b32 v49, v7, v10 offset1:8
	;; [unrolled: 1-line block ×7, first 2 shown]
	v_mul_u32_u24_e32 v13, 6, v58
	v_dual_sub_f32 v24, v36, v42 :: v_dual_sub_f32 v25, v37, v44
	v_sub_f32_e32 v30, v40, v59
	v_sub_f32_e32 v26, v27, v26
	v_fma_f32 v34, v38, 2.0, -v28
	s_delay_alu instid0(VALU_DEP_4)
	v_fma_f32 v32, v36, 2.0, -v24
	v_fma_f32 v33, v37, 2.0, -v25
	;; [unrolled: 1-line block ×6, first 2 shown]
	s_waitcnt lgkmcnt(0)
	s_barrier
	buffer_gl0_inv
	ds_load_2addr_b32 v[17:18], v0 offset1:56
	ds_load_2addr_b32 v[36:37], v0 offset0:112 offset1:168
	ds_load_2addr_b32 v[38:39], v21 offset0:96 offset1:152
	ds_load_2addr_b32 v[40:41], v19 offset0:80 offset1:136
	ds_load_2addr_b32 v[42:43], v19 offset0:192 offset1:248
	ds_load_2addr_b32 v[44:45], v20 offset0:48 offset1:104
	ds_load_2addr_b32 v[46:47], v20 offset0:160 offset1:216
	s_waitcnt lgkmcnt(0)
	s_barrier
	buffer_gl0_inv
	ds_store_2addr_b32 v5, v32, v24 offset1:8
	ds_store_2addr_b32 v49, v33, v25 offset1:8
	;; [unrolled: 1-line block ×7, first 2 shown]
	v_lshlrev_b32_e32 v31, 3, v13
	s_waitcnt lgkmcnt(0)
	s_barrier
	buffer_gl0_inv
	s_clause 0x5
	global_load_b128 v[5:8], v48, s[8:9] offset:112
	global_load_b128 v[9:12], v48, s[8:9] offset:128
	;; [unrolled: 1-line block ×6, first 2 shown]
	v_lshrrev_b32_e32 v52, 4, v22
	v_lshrrev_b32_e32 v50, 4, v35
	ds_load_2addr_b32 v[48:49], v0 offset0:112 offset1:168
	v_mul_u32_u24_e32 v59, 0x70, v52
	v_mul_u32_u24_e32 v57, 0x70, v50
	ds_load_2addr_b32 v[50:51], v21 offset0:96 offset1:152
	ds_load_2addr_b32 v[52:53], v19 offset0:80 offset1:136
	;; [unrolled: 1-line block ×3, first 2 shown]
	v_or_b32_e32 v61, v59, v58
	ds_load_2addr_b32 v[58:59], v20 offset0:160 offset1:216
	v_or_b32_e32 v60, v57, v56
	ds_load_2addr_b32 v[56:57], v20 offset0:48 offset1:104
	v_lshl_add_u32 v63, v61, 2, 0
	v_lshl_add_u32 v62, v60, 2, 0
	ds_load_2addr_b32 v[60:61], v0 offset1:56
	s_waitcnt vmcnt(0) lgkmcnt(0)
	s_barrier
	buffer_gl0_inv
	v_mul_f32_e32 v69, v58, v16
	v_mul_f32_e32 v16, v46, v16
	v_mul_f32_e32 v65, v50, v8
	v_dual_mul_f32 v75, v59, v34 :: v_dual_mul_f32 v8, v38, v8
	v_mul_f32_e32 v71, v51, v26
	v_mul_f32_e32 v66, v52, v10
	v_fmac_f32_e32 v16, v58, v15
	v_mul_f32_e32 v64, v48, v6
	v_dual_mul_f32 v6, v36, v6 :: v_dual_mul_f32 v67, v54, v12
	v_dual_mul_f32 v12, v42, v12 :: v_dual_mul_f32 v73, v55, v30
	v_mul_f32_e32 v68, v56, v14
	v_mul_f32_e32 v14, v44, v14
	v_fma_f32 v36, v36, v5, -v64
	v_fmac_f32_e32 v6, v48, v5
	v_fma_f32 v5, v38, v7, -v65
	v_fmac_f32_e32 v8, v50, v7
	v_fma_f32 v7, v40, v9, -v66
	v_mul_f32_e32 v10, v40, v10
	v_fmac_f32_e32 v12, v54, v11
	v_fmac_f32_e32 v14, v56, v13
	v_mul_f32_e32 v26, v39, v26
	s_delay_alu instid0(VALU_DEP_4)
	v_fmac_f32_e32 v10, v52, v9
	v_fma_f32 v9, v42, v11, -v67
	v_fma_f32 v11, v44, v13, -v68
	;; [unrolled: 1-line block ×3, first 2 shown]
	v_mul_f32_e32 v70, v49, v24
	v_mul_f32_e32 v24, v37, v24
	v_fmac_f32_e32 v26, v51, v25
	s_delay_alu instid0(VALU_DEP_3)
	v_fma_f32 v15, v37, v23, -v70
	v_add_f32_e32 v37, v6, v16
	v_sub_f32_e32 v6, v6, v16
	v_add_f32_e32 v16, v5, v11
	v_sub_f32_e32 v5, v5, v11
	;; [unrolled: 2-line block ×3, first 2 shown]
	v_dual_sub_f32 v9, v12, v10 :: v_dual_fmac_f32 v24, v49, v23
	v_fma_f32 v23, v39, v25, -v71
	v_mul_f32_e32 v72, v53, v28
	v_mul_f32_e32 v30, v43, v30
	;; [unrolled: 1-line block ×4, first 2 shown]
	v_add_f32_e32 v40, v7, v5
	v_fma_f32 v25, v41, v27, -v72
	v_mul_f32_e32 v28, v41, v28
	v_fmac_f32_e32 v30, v55, v29
	v_fmac_f32_e32 v32, v57, v31
	v_sub_f32_e32 v42, v7, v5
	s_delay_alu instid0(VALU_DEP_4) | instskip(SKIP_4) | instid1(VALU_DEP_4)
	v_fmac_f32_e32 v28, v53, v27
	v_mul_f32_e32 v34, v47, v34
	v_fma_f32 v27, v43, v29, -v73
	v_fma_f32 v29, v45, v31, -v74
	;; [unrolled: 1-line block ×3, first 2 shown]
	v_fmac_f32_e32 v34, v59, v33
	v_add_f32_e32 v33, v36, v13
	v_sub_f32_e32 v13, v36, v13
	s_delay_alu instid0(VALU_DEP_1) | instskip(SKIP_2) | instid1(VALU_DEP_2)
	v_dual_sub_f32 v7, v13, v7 :: v_dual_add_f32 v36, v8, v14
	v_dual_sub_f32 v8, v8, v14 :: v_dual_sub_f32 v5, v5, v13
	v_add_f32_e32 v13, v40, v13
	v_add_f32_e32 v41, v9, v8
	v_sub_f32_e32 v43, v9, v8
	v_add_f32_e32 v14, v10, v12
	v_add_f32_e32 v10, v15, v31
	v_sub_f32_e32 v15, v15, v31
	v_add_f32_e32 v31, v23, v29
	v_sub_f32_e32 v23, v23, v29
	v_add_f32_e32 v29, v25, v27
	v_dual_sub_f32 v25, v27, v25 :: v_dual_add_f32 v12, v24, v34
	s_delay_alu instid0(VALU_DEP_4) | instskip(SKIP_2) | instid1(VALU_DEP_4)
	v_add_f32_e32 v44, v31, v10
	v_sub_f32_e32 v24, v24, v34
	v_sub_f32_e32 v46, v31, v10
	v_add_f32_e32 v48, v25, v23
	v_dual_sub_f32 v50, v25, v23 :: v_dual_sub_f32 v25, v15, v25
	v_dual_add_f32 v34, v26, v32 :: v_dual_sub_f32 v31, v29, v31
	v_sub_f32_e32 v27, v30, v28
	v_sub_f32_e32 v23, v23, v15
	v_add_f32_e32 v15, v48, v15
	s_delay_alu instid0(VALU_DEP_4) | instskip(SKIP_4) | instid1(VALU_DEP_4)
	v_sub_f32_e32 v47, v34, v12
	v_sub_f32_e32 v26, v26, v32
	;; [unrolled: 1-line block ×4, first 2 shown]
	v_mul_f32_e32 v48, 0xbf08b237, v50
	v_dual_mul_f32 v50, 0x3f5ff5aa, v23 :: v_dual_sub_f32 v51, v27, v26
	v_add_f32_e32 v32, v28, v30
	v_dual_add_f32 v28, v16, v33 :: v_dual_sub_f32 v33, v33, v11
	v_sub_f32_e32 v16, v11, v16
	v_fma_f32 v23, 0x3f5ff5aa, v23, -v48
	s_delay_alu instid0(VALU_DEP_3) | instskip(NEXT) | instid1(VALU_DEP_3)
	v_dual_add_f32 v11, v11, v28 :: v_dual_mul_f32 v28, 0x3f4a47b2, v33
	v_dual_mul_f32 v33, 0x3d64c772, v16 :: v_dual_add_f32 v30, v36, v37
	v_sub_f32_e32 v39, v36, v37
	s_delay_alu instid0(VALU_DEP_3) | instskip(SKIP_1) | instid1(VALU_DEP_4)
	v_add_f32_e32 v17, v17, v11
	v_dual_sub_f32 v37, v37, v14 :: v_dual_sub_f32 v36, v14, v36
	v_dual_add_f32 v14, v14, v30 :: v_dual_fmac_f32 v23, 0x3ee1c552, v15
	s_delay_alu instid0(VALU_DEP_3) | instskip(NEXT) | instid1(VALU_DEP_3)
	v_fmamk_f32 v11, v11, 0xbf955555, v17
	v_mul_f32_e32 v30, 0x3f4a47b2, v37
	s_delay_alu instid0(VALU_DEP_4) | instskip(SKIP_3) | instid1(VALU_DEP_4)
	v_dual_mul_f32 v37, 0x3d64c772, v36 :: v_dual_sub_f32 v8, v8, v6
	v_dual_add_f32 v6, v41, v6 :: v_dual_mul_f32 v41, 0xbf08b237, v43
	v_add_f32_e32 v45, v34, v12
	v_sub_f32_e32 v12, v12, v32
	v_dual_sub_f32 v34, v32, v34 :: v_dual_mul_f32 v43, 0x3f5ff5aa, v8
	v_fma_f32 v37, 0x3f3bfb3b, v39, -v37
	s_delay_alu instid0(VALU_DEP_4) | instskip(SKIP_1) | instid1(VALU_DEP_4)
	v_add_f32_e32 v32, v32, v45
	v_dual_sub_f32 v10, v10, v29 :: v_dual_add_f32 v29, v29, v44
	v_dual_mul_f32 v44, 0x3d64c772, v31 :: v_dual_mul_f32 v45, 0x3d64c772, v34
	v_add_f32_e32 v49, v27, v26
	s_delay_alu instid0(VALU_DEP_3) | instskip(SKIP_1) | instid1(VALU_DEP_2)
	v_dual_mul_f32 v10, 0x3f4a47b2, v10 :: v_dual_sub_f32 v27, v24, v27
	v_fma_f32 v8, 0x3f5ff5aa, v8, -v41
	v_dual_add_f32 v18, v18, v29 :: v_dual_fmamk_f32 v31, v31, 0x3d64c772, v10
	v_fmamk_f32 v36, v36, 0x3d64c772, v30
	v_fma_f32 v30, 0xbf3bfb3b, v39, -v30
	v_fmamk_f32 v39, v9, 0x3eae86e6, v41
	v_fma_f32 v9, 0xbeae86e6, v9, -v43
	;; [unrolled: 2-line block ×3, first 2 shown]
	v_sub_f32_e32 v26, v26, v24
	v_fma_f32 v33, 0x3f3bfb3b, v38, -v33
	v_fmac_f32_e32 v9, 0x3ee1c552, v6
	v_mul_f32_e32 v40, 0xbf08b237, v42
	v_mul_f32_e32 v42, 0x3f5ff5aa, v5
	v_dual_add_f32 v24, v49, v24 :: v_dual_mul_f32 v49, 0xbf08b237, v51
	v_fmac_f32_e32 v25, 0x3ee1c552, v15
	v_mul_f32_e32 v51, 0x3f5ff5aa, v26
	v_fmamk_f32 v16, v16, 0x3d64c772, v28
	v_fma_f32 v28, 0xbf3bfb3b, v38, -v28
	v_fmamk_f32 v38, v7, 0x3eae86e6, v40
	v_fma_f32 v7, 0xbeae86e6, v7, -v42
	v_fma_f32 v26, 0x3f5ff5aa, v26, -v49
	v_fmac_f32_e32 v43, 0x3ee1c552, v15
	v_add_f32_e32 v15, v16, v11
	v_fma_f32 v5, 0x3f5ff5aa, v5, -v40
	v_fmac_f32_e32 v7, 0x3ee1c552, v13
	v_fma_f32 v41, 0x3f3bfb3b, v46, -v44
	v_fmamk_f32 v44, v27, 0x3eae86e6, v49
	v_fma_f32 v27, 0xbeae86e6, v27, -v51
	v_dual_fmac_f32 v26, 0x3ee1c552, v24 :: v_dual_fmac_f32 v5, 0x3ee1c552, v13
	v_mul_f32_e32 v12, 0x3f4a47b2, v12
	s_delay_alu instid0(VALU_DEP_4) | instskip(NEXT) | instid1(VALU_DEP_4)
	v_fmac_f32_e32 v44, 0x3ee1c552, v24
	v_dual_fmac_f32 v27, 0x3ee1c552, v24 :: v_dual_add_f32 v24, v33, v11
	v_add_f32_e32 v11, v28, v11
	v_fmac_f32_e32 v39, 0x3ee1c552, v6
	v_fmac_f32_e32 v8, 0x3ee1c552, v6
	v_fmamk_f32 v6, v29, 0xbf955555, v18
	v_add_f32_e32 v40, v61, v32
	v_fmamk_f32 v34, v34, 0x3d64c772, v12
	v_fma_f32 v42, 0x3f3bfb3b, v47, -v45
	v_fma_f32 v12, 0xbf3bfb3b, v47, -v12
	v_add_f32_e32 v28, v31, v6
	v_add_f32_e32 v31, v41, v6
	;; [unrolled: 1-line block ×3, first 2 shown]
	v_fmac_f32_e32 v38, 0x3ee1c552, v13
	v_fmamk_f32 v13, v32, 0xbf955555, v40
	s_delay_alu instid0(VALU_DEP_3) | instskip(NEXT) | instid1(VALU_DEP_2)
	v_fmamk_f32 v14, v14, 0xbf955555, v52
	v_add_f32_e32 v32, v42, v13
	v_dual_add_f32 v33, v12, v13 :: v_dual_add_f32 v12, v9, v11
	s_delay_alu instid0(VALU_DEP_3) | instskip(SKIP_3) | instid1(VALU_DEP_4)
	v_add_f32_e32 v29, v37, v14
	v_add_f32_e32 v16, v36, v14
	;; [unrolled: 1-line block ×3, first 2 shown]
	v_dual_add_f32 v30, v34, v13 :: v_dual_sub_f32 v13, v24, v8
	v_add_f32_e32 v37, v5, v29
	v_fma_f32 v10, 0xbf3bfb3b, v46, -v10
	v_add_f32_e32 v8, v8, v24
	v_sub_f32_e32 v24, v29, v5
	v_dual_sub_f32 v5, v11, v9 :: v_dual_sub_f32 v36, v14, v7
	s_delay_alu instid0(VALU_DEP_4)
	v_add_f32_e32 v6, v10, v6
	v_add_f32_e32 v10, v39, v15
	;; [unrolled: 1-line block ×3, first 2 shown]
	v_sub_f32_e32 v7, v15, v39
	v_dual_add_f32 v15, v26, v31 :: v_dual_sub_f32 v34, v16, v38
	v_add_f32_e32 v38, v38, v16
	v_add_f32_e32 v9, v44, v28
	;; [unrolled: 1-line block ×3, first 2 shown]
	v_sub_f32_e32 v14, v31, v26
	v_sub_f32_e32 v6, v6, v27
	;; [unrolled: 1-line block ×3, first 2 shown]
	ds_store_2addr_b32 v62, v17, v10 offset1:16
	ds_store_2addr_b32 v62, v12, v13 offset0:32 offset1:48
	ds_store_2addr_b32 v62, v8, v5 offset0:64 offset1:80
	ds_store_b32 v62, v7 offset:384
	ds_store_2addr_b32 v63, v18, v9 offset1:16
	ds_store_2addr_b32 v63, v11, v14 offset0:32 offset1:48
	ds_store_2addr_b32 v63, v15, v6 offset0:64 offset1:80
	ds_store_b32 v63, v16 offset:384
	s_waitcnt lgkmcnt(0)
	s_barrier
	buffer_gl0_inv
	ds_load_2addr_b32 v[5:6], v0 offset1:56
	ds_load_2addr_b32 v[13:14], v0 offset0:112 offset1:168
	ds_load_2addr_b32 v[7:8], v21 offset0:96 offset1:152
	;; [unrolled: 1-line block ×6, first 2 shown]
	v_dual_sub_f32 v39, v30, v43 :: v_dual_sub_f32 v26, v33, v25
	v_add_f32_e32 v27, v23, v32
	v_sub_f32_e32 v23, v32, v23
	v_dual_add_f32 v25, v25, v33 :: v_dual_add_f32 v28, v43, v30
	s_waitcnt lgkmcnt(0)
	s_barrier
	buffer_gl0_inv
	ds_store_2addr_b32 v62, v52, v34 offset1:16
	ds_store_2addr_b32 v62, v36, v37 offset0:32 offset1:48
	ds_store_2addr_b32 v62, v24, v29 offset0:64 offset1:80
	ds_store_b32 v62, v38 offset:384
	ds_store_2addr_b32 v63, v40, v39 offset1:16
	ds_store_2addr_b32 v63, v26, v27 offset0:32 offset1:48
	ds_store_2addr_b32 v63, v23, v25 offset0:64 offset1:80
	ds_store_b32 v63, v28 offset:384
	s_waitcnt lgkmcnt(0)
	s_barrier
	buffer_gl0_inv
	s_and_saveexec_b32 s2, vcc_lo
	s_cbranch_execz .LBB0_15
; %bb.14:
	v_mul_u32_u24_e32 v22, 6, v22
	v_mul_u32_u24_e32 v34, 6, v35
	v_lshrrev_b32_e32 v50, 4, v35
	v_mul_lo_u32 v56, s1, v3
	v_mul_lo_u32 v57, s0, v4
	v_lshlrev_b32_e32 v30, 3, v22
	v_mad_u64_u32 v[48:49], null, s0, v3, 0
	v_mul_hi_u32 v58, 0x24924925, v50
	s_clause 0x2
	global_load_b128 v[22:25], v30, s[8:9] offset:880
	global_load_b128 v[26:29], v30, s[8:9] offset:912
	;; [unrolled: 1-line block ×3, first 2 shown]
	v_lshlrev_b32_e32 v34, 3, v34
	s_clause 0x2
	global_load_b128 v[36:39], v34, s[8:9] offset:880
	global_load_b128 v[40:43], v34, s[8:9] offset:912
	global_load_b128 v[44:47], v34, s[8:9] offset:896
	v_add_nc_u32_e32 v34, 56, v35
	v_add3_u32 v49, v49, v57, v56
	v_mul_lo_u32 v61, 0x70, v58
	s_delay_alu instid0(VALU_DEP_3) | instskip(NEXT) | instid1(VALU_DEP_3)
	v_lshrrev_b32_e32 v51, 4, v34
	v_lshlrev_b64 v[48:49], 3, v[48:49]
	s_delay_alu instid0(VALU_DEP_3) | instskip(NEXT) | instid1(VALU_DEP_3)
	v_sub_nc_u32_e32 v35, v35, v61
	v_mul_hi_u32 v60, 0x24924925, v51
	ds_load_2addr_b32 v[3:4], v0 offset0:112 offset1:168
	ds_load_2addr_b32 v[50:51], v20 offset0:160 offset1:216
	;; [unrolled: 1-line block ×6, first 2 shown]
	ds_load_2addr_b32 v[58:59], v0 offset1:56
	v_lshlrev_b64 v[0:1], 3, v[1:2]
	v_dual_mov_b32 v2, 0 :: v_dual_lshlrev_b32 v61, 3, v35
	v_add_co_u32 v48, vcc_lo, s6, v48
	v_mul_lo_u32 v62, 0x70, v60
	v_add_co_ci_u32_e32 v49, vcc_lo, s7, v49, vcc_lo
	s_waitcnt vmcnt(4) lgkmcnt(1)
	v_mul_f32_e32 v75, v27, v20
	s_delay_alu instid0(VALU_DEP_3) | instskip(SKIP_3) | instid1(VALU_DEP_3)
	v_sub_nc_u32_e32 v21, v34, v62
	v_mul_f32_e32 v20, v26, v20
	s_waitcnt vmcnt(2)
	v_mul_f32_e32 v80, v56, v39
	v_mad_u64_u32 v[34:35], null, 0x310, v60, v[21:22]
	v_add_co_u32 v21, vcc_lo, v48, v0
	v_add_co_ci_u32_e32 v74, vcc_lo, v49, v1, vcc_lo
	v_mov_b32_e32 v35, v2
	s_delay_alu instid0(VALU_DEP_3) | instskip(SKIP_1) | instid1(VALU_DEP_4)
	v_add_co_u32 v48, vcc_lo, v21, v61
	v_add_nc_u32_e32 v1, 0x70, v34
	v_add_co_ci_u32_e32 v49, vcc_lo, 0, v74, vcc_lo
	s_delay_alu instid0(VALU_DEP_4) | instskip(NEXT) | instid1(VALU_DEP_4)
	v_lshlrev_b64 v[60:61], 3, v[34:35]
	v_add_co_u32 v62, vcc_lo, 0x1000, v48
	s_delay_alu instid0(VALU_DEP_4) | instskip(SKIP_3) | instid1(VALU_DEP_3)
	v_lshlrev_b64 v[64:65], 3, v[1:2]
	v_add_nc_u32_e32 v1, 0xe0, v34
	v_add_co_ci_u32_e32 v63, vcc_lo, 0, v49, vcc_lo
	v_add_co_u32 v60, vcc_lo, v21, v60
	v_lshlrev_b64 v[66:67], 3, v[1:2]
	v_add_nc_u32_e32 v1, 0x150, v34
	v_add_co_ci_u32_e32 v61, vcc_lo, v74, v61, vcc_lo
	v_add_co_u32 v64, vcc_lo, v21, v64
	s_delay_alu instid0(VALU_DEP_3) | instskip(SKIP_3) | instid1(VALU_DEP_3)
	v_lshlrev_b64 v[68:69], 3, v[1:2]
	v_add_nc_u32_e32 v1, 0x1c0, v34
	v_add_co_ci_u32_e32 v65, vcc_lo, v74, v65, vcc_lo
	v_add_co_u32 v66, vcc_lo, v21, v66
	v_lshlrev_b64 v[70:71], 3, v[1:2]
	v_dual_mul_f32 v76, v3, v37 :: v_dual_add_nc_u32 v1, 0x230, v34
	v_add_co_ci_u32_e32 v67, vcc_lo, v74, v67, vcc_lo
	v_add_co_u32 v68, vcc_lo, v21, v68
	s_delay_alu instid0(VALU_DEP_3) | instskip(SKIP_4) | instid1(VALU_DEP_3)
	v_lshlrev_b64 v[72:73], 3, v[1:2]
	s_waitcnt vmcnt(0)
	v_dual_mul_f32 v78, v52, v47 :: v_dual_add_nc_u32 v1, 0x2a0, v34
	v_add_co_ci_u32_e32 v69, vcc_lo, v74, v69, vcc_lo
	v_add_co_u32 v34, vcc_lo, v21, v70
	v_lshlrev_b64 v[0:1], 3, v[1:2]
	v_add_co_ci_u32_e32 v35, vcc_lo, v74, v71, vcc_lo
	v_add_co_u32 v70, vcc_lo, v21, v72
	v_mul_f32_e32 v72, v33, v53
	v_mul_f32_e32 v53, v32, v53
	v_add_co_ci_u32_e32 v71, vcc_lo, v74, v73, vcc_lo
	v_add_co_u32 v0, vcc_lo, v21, v0
	v_add_co_ci_u32_e32 v1, vcc_lo, v74, v1, vcc_lo
	v_mul_f32_e32 v74, v25, v57
	v_fmac_f32_e32 v53, v16, v33
	v_mul_f32_e32 v57, v24, v57
	v_mul_f32_e32 v2, v4, v23
	;; [unrolled: 1-line block ×4, first 2 shown]
	v_dual_mul_f32 v81, v19, v41 :: v_dual_fmac_f32 v20, v12, v27
	v_fma_f32 v32, v16, v32, -v72
	v_mul_f32_e32 v16, v7, v39
	v_mul_f32_e32 v73, v31, v55
	v_fmac_f32_e32 v57, v8, v25
	v_mul_f32_e32 v55, v30, v55
	v_mul_f32_e32 v51, v28, v51
	v_fma_f32 v2, v14, v22, -v2
	v_fmac_f32_e32 v16, v38, v56
	v_fma_f32 v30, v10, v30, -v73
	v_mul_f32_e32 v23, v14, v23
	v_fma_f32 v14, v18, v28, -v21
	v_mul_f32_e32 v45, v9, v45
	v_fma_f32 v21, v8, v24, -v74
	v_fma_f32 v24, v12, v26, -v75
	;; [unrolled: 1-line block ×4, first 2 shown]
	v_dual_fmac_f32 v55, v10, v31 :: v_dual_mul_f32 v10, v11, v41
	v_mul_f32_e32 v37, v13, v37
	v_fma_f32 v7, v7, v38, -v80
	v_fma_f32 v11, v11, v40, -v81
	s_delay_alu instid0(VALU_DEP_4) | instskip(NEXT) | instid1(VALU_DEP_4)
	v_dual_fmac_f32 v51, v18, v29 :: v_dual_fmac_f32 v10, v40, v19
	v_fmac_f32_e32 v37, v36, v3
	v_sub_f32_e32 v3, v2, v14
	v_add_f32_e32 v2, v2, v14
	v_dual_add_f32 v14, v32, v30 :: v_dual_fmac_f32 v23, v22, v4
	v_fma_f32 v4, v13, v36, -v76
	v_mul_f32_e32 v77, v50, v43
	v_dual_sub_f32 v26, v7, v11 :: v_dual_add_f32 v29, v16, v10
	v_dual_add_f32 v7, v7, v11 :: v_dual_sub_f32 v10, v16, v10
	s_delay_alu instid0(VALU_DEP_3)
	v_fma_f32 v8, v17, v42, -v77
	v_mul_f32_e32 v47, v15, v47
	v_dual_sub_f32 v22, v23, v51 :: v_dual_sub_f32 v15, v21, v24
	v_add_f32_e32 v21, v21, v24
	v_sub_f32_e32 v13, v32, v30
	v_sub_f32_e32 v24, v4, v8
	;; [unrolled: 1-line block ×3, first 2 shown]
	v_add_f32_e32 v4, v4, v8
	v_add_f32_e32 v8, v12, v9
	v_sub_f32_e32 v36, v14, v21
	v_sub_f32_e32 v16, v13, v15
	v_add_f32_e32 v19, v57, v20
	v_dual_fmac_f32 v45, v44, v54 :: v_dual_sub_f32 v20, v57, v20
	v_fmac_f32_e32 v47, v46, v52
	v_mul_f32_e32 v43, v17, v43
	v_add_f32_e32 v17, v23, v51
	v_sub_f32_e32 v23, v53, v55
	v_add_f32_e32 v18, v53, v55
	v_sub_f32_e32 v12, v3, v13
	v_sub_f32_e32 v44, v8, v7
	v_add_f32_e32 v32, v17, v19
	v_dual_sub_f32 v38, v22, v23 :: v_dual_sub_f32 v39, v23, v20
	v_dual_add_f32 v23, v23, v20 :: v_dual_sub_f32 v20, v20, v22
	v_dual_add_f32 v28, v47, v45 :: v_dual_fmac_f32 v43, v42, v50
	v_dual_sub_f32 v11, v47, v45 :: v_dual_sub_f32 v30, v17, v18
	s_delay_alu instid0(VALU_DEP_2) | instskip(SKIP_1) | instid1(VALU_DEP_1)
	v_dual_mul_f32 v44, 0x3d64c772, v44 :: v_dual_add_f32 v27, v37, v43
	v_sub_f32_e32 v9, v37, v43
	v_dual_sub_f32 v47, v11, v10 :: v_dual_sub_f32 v46, v9, v11
	v_sub_f32_e32 v43, v4, v8
	v_add_f32_e32 v45, v4, v7
	v_add_f32_e32 v11, v11, v10
	v_dual_sub_f32 v4, v7, v4 :: v_dual_sub_f32 v7, v10, v9
	v_mul_f32_e32 v10, 0xbf08b237, v16
	v_add_f32_e32 v42, v27, v29
	v_add_f32_e32 v37, v2, v21
	v_sub_f32_e32 v31, v18, v19
	s_delay_alu instid0(VALU_DEP_4)
	v_dual_sub_f32 v17, v19, v17 :: v_dual_fmamk_f32 v50, v12, 0x3eae86e6, v10
	v_dual_sub_f32 v19, v21, v2 :: v_dual_add_f32 v8, v8, v45
	v_dual_sub_f32 v40, v27, v28 :: v_dual_sub_f32 v41, v28, v29
	v_dual_add_f32 v28, v28, v42 :: v_dual_add_f32 v13, v13, v15
	v_mul_f32_e32 v42, 0x3f4a47b2, v43
	v_add_f32_e32 v22, v22, v23
	v_sub_f32_e32 v33, v2, v14
	v_sub_f32_e32 v2, v25, v26
	v_dual_add_f32 v14, v14, v37 :: v_dual_sub_f32 v15, v15, v3
	v_add_f32_e32 v18, v18, v32
	v_mul_f32_e32 v32, 0x3d64c772, v36
	s_delay_alu instid0(VALU_DEP_4) | instskip(NEXT) | instid1(VALU_DEP_4)
	v_dual_mul_f32 v36, 0xbf08b237, v39 :: v_dual_mul_f32 v39, 0xbf08b237, v2
	v_dual_add_f32 v2, v6, v14 :: v_dual_sub_f32 v21, v24, v25
	s_waitcnt lgkmcnt(0)
	v_dual_add_f32 v25, v25, v26 :: v_dual_add_f32 v6, v58, v28
	v_sub_f32_e32 v26, v26, v24
	v_mul_f32_e32 v16, 0x3f4a47b2, v30
	v_fmamk_f32 v14, v14, 0xbf955555, v2
	s_delay_alu instid0(VALU_DEP_4) | instskip(SKIP_3) | instid1(VALU_DEP_4)
	v_dual_mul_f32 v23, 0x3f5ff5aa, v15 :: v_dual_add_f32 v24, v24, v25
	v_add_f32_e32 v9, v9, v11
	v_mul_f32_e32 v11, 0x3f5ff5aa, v26
	v_fma_f32 v15, 0x3f5ff5aa, v15, -v10
	v_fma_f32 v23, 0xbeae86e6, v12, -v23
	;; [unrolled: 1-line block ×3, first 2 shown]
	v_mul_f32_e32 v37, 0x3f5ff5aa, v20
	v_fma_f32 v20, 0x3f5ff5aa, v20, -v36
	v_sub_f32_e32 v27, v29, v27
	v_mul_f32_e32 v29, 0x3d64c772, v31
	v_mul_f32_e32 v31, 0x3f4a47b2, v33
	v_fma_f32 v26, 0x3f5ff5aa, v26, -v39
	v_add_f32_e32 v13, v3, v13
	v_add_f32_e32 v5, v5, v8
	;; [unrolled: 1-line block ×3, first 2 shown]
	v_fma_f32 v16, 0xbf3bfb3b, v19, -v31
	v_fma_f32 v31, 0xbeae86e6, v38, -v37
	v_dual_fmac_f32 v26, 0x3ee1c552, v24 :: v_dual_fmac_f32 v23, 0x3ee1c552, v13
	v_fmamk_f32 v51, v38, 0x3eae86e6, v36
	v_fmac_f32_e32 v15, 0x3ee1c552, v13
	v_fmamk_f32 v33, v33, 0x3f4a47b2, v32
	v_dual_fmac_f32 v50, 0x3ee1c552, v13 :: v_dual_fmac_f32 v31, 0x3ee1c552, v22
	s_delay_alu instid0(VALU_DEP_4)
	v_fmac_f32_e32 v51, 0x3ee1c552, v22
	v_fmac_f32_e32 v20, 0x3ee1c552, v22
	v_fmamk_f32 v8, v8, 0xbf955555, v5
	v_dual_mul_f32 v45, 0xbf08b237, v47 :: v_dual_add_f32 v22, v33, v14
	v_fmamk_f32 v30, v30, 0x3f4a47b2, v29
	v_fma_f32 v37, 0xbeae86e6, v21, -v11
	v_mul_f32_e32 v47, 0x3f5ff5aa, v7
	v_fma_f32 v17, 0x3f3bfb3b, v17, -v29
	v_fma_f32 v38, 0x3f5ff5aa, v7, -v45
	v_fmamk_f32 v13, v28, 0xbf955555, v6
	v_fmac_f32_e32 v37, 0x3ee1c552, v24
	v_dual_fmamk_f32 v7, v18, 0xbf955555, v3 :: v_dual_add_f32 v28, v16, v14
	v_fma_f32 v10, 0x3f3bfb3b, v19, -v32
	s_delay_alu instid0(VALU_DEP_2) | instskip(SKIP_4) | instid1(VALU_DEP_4)
	v_add_f32_e32 v18, v30, v7
	v_add_f32_e32 v16, v17, v7
	v_fmamk_f32 v29, v21, 0x3eae86e6, v39
	v_fma_f32 v21, 0xbf3bfb3b, v4, -v42
	v_fma_f32 v4, 0x3f3bfb3b, v4, -v44
	v_dual_add_f32 v17, v10, v14 :: v_dual_add_f32 v14, v15, v16
	s_delay_alu instid0(VALU_DEP_3) | instskip(NEXT) | instid1(VALU_DEP_3)
	v_add_f32_e32 v39, v21, v8
	v_add_f32_e32 v4, v4, v8
	v_fmamk_f32 v36, v46, 0x3eae86e6, v45
	v_fmamk_f32 v32, v43, 0x3f4a47b2, v44
	s_delay_alu instid0(VALU_DEP_1) | instskip(SKIP_2) | instid1(VALU_DEP_3)
	v_dual_mul_f32 v41, 0x3d64c772, v41 :: v_dual_add_f32 v32, v32, v8
	v_add_f32_e32 v8, v50, v18
	v_dual_sub_f32 v18, v18, v50 :: v_dual_fmac_f32 v29, 0x3ee1c552, v24
	v_fmamk_f32 v19, v40, 0x3f4a47b2, v41
	v_mul_f32_e32 v25, 0x3f4a47b2, v40
	v_fmac_f32_e32 v36, 0x3ee1c552, v9
	v_add_f32_e32 v24, v12, v7
	v_fmac_f32_e32 v38, 0x3ee1c552, v9
	v_add_f32_e32 v30, v19, v13
	v_fma_f32 v11, 0xbf3bfb3b, v27, -v25
	v_fma_f32 v25, 0xbeae86e6, v46, -v47
	;; [unrolled: 1-line block ×3, first 2 shown]
	v_add_f32_e32 v10, v23, v24
	s_delay_alu instid0(VALU_DEP_4) | instskip(NEXT) | instid1(VALU_DEP_4)
	v_dual_sub_f32 v12, v16, v15 :: v_dual_add_f32 v33, v11, v13
	v_fmac_f32_e32 v25, 0x3ee1c552, v9
	s_delay_alu instid0(VALU_DEP_4)
	v_add_f32_e32 v27, v27, v13
	v_add_f32_e32 v11, v20, v17
	v_sub_f32_e32 v13, v17, v20
	v_add_f32_e32 v20, v29, v30
	v_dual_sub_f32 v30, v30, v29 :: v_dual_add_f32 v29, v36, v32
	v_sub_f32_e32 v9, v28, v31
	v_dual_sub_f32 v16, v24, v23 :: v_dual_add_f32 v15, v31, v28
	v_sub_f32_e32 v24, v27, v26
	v_add_f32_e32 v26, v26, v27
	v_sub_f32_e32 v28, v33, v37
	v_add_f32_e32 v27, v25, v39
	v_sub_f32_e32 v21, v39, v25
	v_sub_f32_e32 v25, v4, v38
	v_add_f32_e32 v23, v38, v4
	v_sub_f32_e32 v7, v22, v51
	v_add_f32_e32 v17, v51, v22
	v_dual_sub_f32 v19, v32, v36 :: v_dual_add_f32 v22, v37, v33
	s_clause 0xd
	global_store_b64 v[48:49], v[5:6], off
	global_store_b64 v[48:49], v[29:30], off offset:896
	global_store_b64 v[48:49], v[27:28], off offset:1792
	;; [unrolled: 1-line block ×6, first 2 shown]
	global_store_b64 v[60:61], v[2:3], off
	global_store_b64 v[64:65], v[17:18], off
	;; [unrolled: 1-line block ×7, first 2 shown]
.LBB0_15:
	s_nop 0
	s_sendmsg sendmsg(MSG_DEALLOC_VGPRS)
	s_endpgm
	.section	.rodata,"a",@progbits
	.p2align	6, 0x0
	.amdhsa_kernel fft_rtc_fwd_len784_factors_2_2_2_2_7_7_wgs_56_tpt_56_halfLds_sp_op_CI_CI_unitstride_sbrr_dirReg
		.amdhsa_group_segment_fixed_size 0
		.amdhsa_private_segment_fixed_size 0
		.amdhsa_kernarg_size 104
		.amdhsa_user_sgpr_count 15
		.amdhsa_user_sgpr_dispatch_ptr 0
		.amdhsa_user_sgpr_queue_ptr 0
		.amdhsa_user_sgpr_kernarg_segment_ptr 1
		.amdhsa_user_sgpr_dispatch_id 0
		.amdhsa_user_sgpr_private_segment_size 0
		.amdhsa_wavefront_size32 1
		.amdhsa_uses_dynamic_stack 0
		.amdhsa_enable_private_segment 0
		.amdhsa_system_sgpr_workgroup_id_x 1
		.amdhsa_system_sgpr_workgroup_id_y 0
		.amdhsa_system_sgpr_workgroup_id_z 0
		.amdhsa_system_sgpr_workgroup_info 0
		.amdhsa_system_vgpr_workitem_id 0
		.amdhsa_next_free_vgpr 82
		.amdhsa_next_free_sgpr 27
		.amdhsa_reserve_vcc 1
		.amdhsa_float_round_mode_32 0
		.amdhsa_float_round_mode_16_64 0
		.amdhsa_float_denorm_mode_32 3
		.amdhsa_float_denorm_mode_16_64 3
		.amdhsa_dx10_clamp 1
		.amdhsa_ieee_mode 1
		.amdhsa_fp16_overflow 0
		.amdhsa_workgroup_processor_mode 1
		.amdhsa_memory_ordered 1
		.amdhsa_forward_progress 0
		.amdhsa_shared_vgpr_count 0
		.amdhsa_exception_fp_ieee_invalid_op 0
		.amdhsa_exception_fp_denorm_src 0
		.amdhsa_exception_fp_ieee_div_zero 0
		.amdhsa_exception_fp_ieee_overflow 0
		.amdhsa_exception_fp_ieee_underflow 0
		.amdhsa_exception_fp_ieee_inexact 0
		.amdhsa_exception_int_div_zero 0
	.end_amdhsa_kernel
	.text
.Lfunc_end0:
	.size	fft_rtc_fwd_len784_factors_2_2_2_2_7_7_wgs_56_tpt_56_halfLds_sp_op_CI_CI_unitstride_sbrr_dirReg, .Lfunc_end0-fft_rtc_fwd_len784_factors_2_2_2_2_7_7_wgs_56_tpt_56_halfLds_sp_op_CI_CI_unitstride_sbrr_dirReg
                                        ; -- End function
	.section	.AMDGPU.csdata,"",@progbits
; Kernel info:
; codeLenInByte = 8160
; NumSgprs: 29
; NumVgprs: 82
; ScratchSize: 0
; MemoryBound: 0
; FloatMode: 240
; IeeeMode: 1
; LDSByteSize: 0 bytes/workgroup (compile time only)
; SGPRBlocks: 3
; VGPRBlocks: 10
; NumSGPRsForWavesPerEU: 29
; NumVGPRsForWavesPerEU: 82
; Occupancy: 16
; WaveLimiterHint : 1
; COMPUTE_PGM_RSRC2:SCRATCH_EN: 0
; COMPUTE_PGM_RSRC2:USER_SGPR: 15
; COMPUTE_PGM_RSRC2:TRAP_HANDLER: 0
; COMPUTE_PGM_RSRC2:TGID_X_EN: 1
; COMPUTE_PGM_RSRC2:TGID_Y_EN: 0
; COMPUTE_PGM_RSRC2:TGID_Z_EN: 0
; COMPUTE_PGM_RSRC2:TIDIG_COMP_CNT: 0
	.text
	.p2alignl 7, 3214868480
	.fill 96, 4, 3214868480
	.type	__hip_cuid_ef53b4e04dd56f19,@object ; @__hip_cuid_ef53b4e04dd56f19
	.section	.bss,"aw",@nobits
	.globl	__hip_cuid_ef53b4e04dd56f19
__hip_cuid_ef53b4e04dd56f19:
	.byte	0                               ; 0x0
	.size	__hip_cuid_ef53b4e04dd56f19, 1

	.ident	"AMD clang version 19.0.0git (https://github.com/RadeonOpenCompute/llvm-project roc-6.4.0 25133 c7fe45cf4b819c5991fe208aaa96edf142730f1d)"
	.section	".note.GNU-stack","",@progbits
	.addrsig
	.addrsig_sym __hip_cuid_ef53b4e04dd56f19
	.amdgpu_metadata
---
amdhsa.kernels:
  - .args:
      - .actual_access:  read_only
        .address_space:  global
        .offset:         0
        .size:           8
        .value_kind:     global_buffer
      - .offset:         8
        .size:           8
        .value_kind:     by_value
      - .actual_access:  read_only
        .address_space:  global
        .offset:         16
        .size:           8
        .value_kind:     global_buffer
      - .actual_access:  read_only
        .address_space:  global
        .offset:         24
        .size:           8
        .value_kind:     global_buffer
      - .actual_access:  read_only
        .address_space:  global
        .offset:         32
        .size:           8
        .value_kind:     global_buffer
      - .offset:         40
        .size:           8
        .value_kind:     by_value
      - .actual_access:  read_only
        .address_space:  global
        .offset:         48
        .size:           8
        .value_kind:     global_buffer
      - .actual_access:  read_only
        .address_space:  global
        .offset:         56
        .size:           8
        .value_kind:     global_buffer
      - .offset:         64
        .size:           4
        .value_kind:     by_value
      - .actual_access:  read_only
        .address_space:  global
        .offset:         72
        .size:           8
        .value_kind:     global_buffer
      - .actual_access:  read_only
        .address_space:  global
        .offset:         80
        .size:           8
        .value_kind:     global_buffer
      - .actual_access:  read_only
        .address_space:  global
        .offset:         88
        .size:           8
        .value_kind:     global_buffer
      - .actual_access:  write_only
        .address_space:  global
        .offset:         96
        .size:           8
        .value_kind:     global_buffer
    .group_segment_fixed_size: 0
    .kernarg_segment_align: 8
    .kernarg_segment_size: 104
    .language:       OpenCL C
    .language_version:
      - 2
      - 0
    .max_flat_workgroup_size: 56
    .name:           fft_rtc_fwd_len784_factors_2_2_2_2_7_7_wgs_56_tpt_56_halfLds_sp_op_CI_CI_unitstride_sbrr_dirReg
    .private_segment_fixed_size: 0
    .sgpr_count:     29
    .sgpr_spill_count: 0
    .symbol:         fft_rtc_fwd_len784_factors_2_2_2_2_7_7_wgs_56_tpt_56_halfLds_sp_op_CI_CI_unitstride_sbrr_dirReg.kd
    .uniform_work_group_size: 1
    .uses_dynamic_stack: false
    .vgpr_count:     82
    .vgpr_spill_count: 0
    .wavefront_size: 32
    .workgroup_processor_mode: 1
amdhsa.target:   amdgcn-amd-amdhsa--gfx1100
amdhsa.version:
  - 1
  - 2
...

	.end_amdgpu_metadata
